;; amdgpu-corpus repo=LLNL/RAJAPerf kind=compiled arch=gfx906 opt=O3
	.amdgcn_target "amdgcn-amd-amdhsa--gfx906"
	.amdhsa_code_object_version 6
	.section	.text._ZN4RAJA28launch_new_reduce_global_fcnIZ4mainEUlNS_14LaunchContextTINS_3hip33LaunchContextIndicesAndDimsPolicyINS2_14IndicesAndDimsILb0ELb0ELb0ELb0EEEEEEEE0_NS_4expt15ForallParamPackIJEEEEEvT_T0_,"axG",@progbits,_ZN4RAJA28launch_new_reduce_global_fcnIZ4mainEUlNS_14LaunchContextTINS_3hip33LaunchContextIndicesAndDimsPolicyINS2_14IndicesAndDimsILb0ELb0ELb0ELb0EEEEEEEE0_NS_4expt15ForallParamPackIJEEEEEvT_T0_,comdat
	.globl	_ZN4RAJA28launch_new_reduce_global_fcnIZ4mainEUlNS_14LaunchContextTINS_3hip33LaunchContextIndicesAndDimsPolicyINS2_14IndicesAndDimsILb0ELb0ELb0ELb0EEEEEEEE0_NS_4expt15ForallParamPackIJEEEEEvT_T0_ ; -- Begin function _ZN4RAJA28launch_new_reduce_global_fcnIZ4mainEUlNS_14LaunchContextTINS_3hip33LaunchContextIndicesAndDimsPolicyINS2_14IndicesAndDimsILb0ELb0ELb0ELb0EEEEEEEE0_NS_4expt15ForallParamPackIJEEEEEvT_T0_
	.p2align	8
	.type	_ZN4RAJA28launch_new_reduce_global_fcnIZ4mainEUlNS_14LaunchContextTINS_3hip33LaunchContextIndicesAndDimsPolicyINS2_14IndicesAndDimsILb0ELb0ELb0ELb0EEEEEEEE0_NS_4expt15ForallParamPackIJEEEEEvT_T0_,@function
_ZN4RAJA28launch_new_reduce_global_fcnIZ4mainEUlNS_14LaunchContextTINS_3hip33LaunchContextIndicesAndDimsPolicyINS2_14IndicesAndDimsILb0ELb0ELb0ELb0EEEEEEEE0_NS_4expt15ForallParamPackIJEEEEEvT_T0_: ; @_ZN4RAJA28launch_new_reduce_global_fcnIZ4mainEUlNS_14LaunchContextTINS_3hip33LaunchContextIndicesAndDimsPolicyINS2_14IndicesAndDimsILb0ELb0ELb0ELb0EEEEEEEE0_NS_4expt15ForallParamPackIJEEEEEvT_T0_
; %bb.0:
	s_cmpk_gt_i32 s8, 0x63
	s_cbranch_scc1 .LBB0_4
; %bb.1:
	s_load_dword s2, s[4:5], 0x4c
	s_add_u32 s0, s4, 64
	s_addc_u32 s1, s5, 0
	s_waitcnt lgkmcnt(0)
	s_lshr_b32 s2, s2, 16
	s_mul_i32 s7, s7, s2
	v_add_u32_e32 v1, s7, v1
	s_movk_i32 s2, 0x64
	v_cmp_gt_i32_e32 vcc, s2, v1
	s_and_saveexec_b64 s[10:11], vcc
	s_cbranch_execz .LBB0_4
; %bb.2:
	s_load_dword s0, s[0:1], 0xc
	s_waitcnt lgkmcnt(0)
	s_and_b32 s0, s0, 0xffff
	s_mul_i32 s6, s6, s0
	v_add_u32_e32 v0, s6, v0
	v_cmp_gt_i32_e32 vcc, s2, v0
	s_and_b64 exec, exec, vcc
	s_cbranch_execz .LBB0_4
; %bb.3:
	v_cvt_f64_i32_e32 v[2:3], v0
	s_mov_b32 s0, 0xeb1c432d
	s_mov_b32 s1, 0x3f1a36e2
	v_cvt_f64_i32_e32 v[4:5], v1
	v_mul_f64 v[2:3], v[2:3], s[0:1]
	s_load_dwordx4 s[0:3], s[4:5], 0x14
	s_waitcnt lgkmcnt(0)
	v_mul_lo_u32 v6, v0, s0
	v_mul_lo_u32 v7, v1, s1
	v_mul_f64 v[2:3], v[2:3], v[4:5]
	v_cvt_f64_i32_e32 v[4:5], s8
	s_load_dwordx2 s[0:1], s[4:5], 0x0
	s_mul_i32 s2, s2, s8
	v_mul_f64 v[0:1], v[2:3], v[4:5]
	v_add3_u32 v2, v7, s2, v6
	v_ashrrev_i32_e32 v3, 31, v2
	v_lshlrev_b64 v[2:3], 3, v[2:3]
	s_waitcnt lgkmcnt(0)
	v_mov_b32_e32 v4, s1
	v_add_co_u32_e32 v2, vcc, s0, v2
	v_addc_co_u32_e32 v3, vcc, v4, v3, vcc
	global_store_dwordx2 v[2:3], v[0:1], off
.LBB0_4:
	s_endpgm
	.section	.rodata,"a",@progbits
	.p2align	6, 0x0
	.amdhsa_kernel _ZN4RAJA28launch_new_reduce_global_fcnIZ4mainEUlNS_14LaunchContextTINS_3hip33LaunchContextIndicesAndDimsPolicyINS2_14IndicesAndDimsILb0ELb0ELb0ELb0EEEEEEEE0_NS_4expt15ForallParamPackIJEEEEEvT_T0_
		.amdhsa_group_segment_fixed_size 0
		.amdhsa_private_segment_fixed_size 0
		.amdhsa_kernarg_size 320
		.amdhsa_user_sgpr_count 6
		.amdhsa_user_sgpr_private_segment_buffer 1
		.amdhsa_user_sgpr_dispatch_ptr 0
		.amdhsa_user_sgpr_queue_ptr 0
		.amdhsa_user_sgpr_kernarg_segment_ptr 1
		.amdhsa_user_sgpr_dispatch_id 0
		.amdhsa_user_sgpr_flat_scratch_init 0
		.amdhsa_user_sgpr_private_segment_size 0
		.amdhsa_uses_dynamic_stack 0
		.amdhsa_system_sgpr_private_segment_wavefront_offset 0
		.amdhsa_system_sgpr_workgroup_id_x 1
		.amdhsa_system_sgpr_workgroup_id_y 1
		.amdhsa_system_sgpr_workgroup_id_z 1
		.amdhsa_system_sgpr_workgroup_info 0
		.amdhsa_system_vgpr_workitem_id 1
		.amdhsa_next_free_vgpr 8
		.amdhsa_next_free_sgpr 12
		.amdhsa_reserve_vcc 1
		.amdhsa_reserve_flat_scratch 0
		.amdhsa_float_round_mode_32 0
		.amdhsa_float_round_mode_16_64 0
		.amdhsa_float_denorm_mode_32 3
		.amdhsa_float_denorm_mode_16_64 3
		.amdhsa_dx10_clamp 1
		.amdhsa_ieee_mode 1
		.amdhsa_fp16_overflow 0
		.amdhsa_exception_fp_ieee_invalid_op 0
		.amdhsa_exception_fp_denorm_src 0
		.amdhsa_exception_fp_ieee_div_zero 0
		.amdhsa_exception_fp_ieee_overflow 0
		.amdhsa_exception_fp_ieee_underflow 0
		.amdhsa_exception_fp_ieee_inexact 0
		.amdhsa_exception_int_div_zero 0
	.end_amdhsa_kernel
	.section	.text._ZN4RAJA28launch_new_reduce_global_fcnIZ4mainEUlNS_14LaunchContextTINS_3hip33LaunchContextIndicesAndDimsPolicyINS2_14IndicesAndDimsILb0ELb0ELb0ELb0EEEEEEEE0_NS_4expt15ForallParamPackIJEEEEEvT_T0_,"axG",@progbits,_ZN4RAJA28launch_new_reduce_global_fcnIZ4mainEUlNS_14LaunchContextTINS_3hip33LaunchContextIndicesAndDimsPolicyINS2_14IndicesAndDimsILb0ELb0ELb0ELb0EEEEEEEE0_NS_4expt15ForallParamPackIJEEEEEvT_T0_,comdat
.Lfunc_end0:
	.size	_ZN4RAJA28launch_new_reduce_global_fcnIZ4mainEUlNS_14LaunchContextTINS_3hip33LaunchContextIndicesAndDimsPolicyINS2_14IndicesAndDimsILb0ELb0ELb0ELb0EEEEEEEE0_NS_4expt15ForallParamPackIJEEEEEvT_T0_, .Lfunc_end0-_ZN4RAJA28launch_new_reduce_global_fcnIZ4mainEUlNS_14LaunchContextTINS_3hip33LaunchContextIndicesAndDimsPolicyINS2_14IndicesAndDimsILb0ELb0ELb0ELb0EEEEEEEE0_NS_4expt15ForallParamPackIJEEEEEvT_T0_
                                        ; -- End function
	.set _ZN4RAJA28launch_new_reduce_global_fcnIZ4mainEUlNS_14LaunchContextTINS_3hip33LaunchContextIndicesAndDimsPolicyINS2_14IndicesAndDimsILb0ELb0ELb0ELb0EEEEEEEE0_NS_4expt15ForallParamPackIJEEEEEvT_T0_.num_vgpr, 8
	.set _ZN4RAJA28launch_new_reduce_global_fcnIZ4mainEUlNS_14LaunchContextTINS_3hip33LaunchContextIndicesAndDimsPolicyINS2_14IndicesAndDimsILb0ELb0ELb0ELb0EEEEEEEE0_NS_4expt15ForallParamPackIJEEEEEvT_T0_.num_agpr, 0
	.set _ZN4RAJA28launch_new_reduce_global_fcnIZ4mainEUlNS_14LaunchContextTINS_3hip33LaunchContextIndicesAndDimsPolicyINS2_14IndicesAndDimsILb0ELb0ELb0ELb0EEEEEEEE0_NS_4expt15ForallParamPackIJEEEEEvT_T0_.numbered_sgpr, 12
	.set _ZN4RAJA28launch_new_reduce_global_fcnIZ4mainEUlNS_14LaunchContextTINS_3hip33LaunchContextIndicesAndDimsPolicyINS2_14IndicesAndDimsILb0ELb0ELb0ELb0EEEEEEEE0_NS_4expt15ForallParamPackIJEEEEEvT_T0_.num_named_barrier, 0
	.set _ZN4RAJA28launch_new_reduce_global_fcnIZ4mainEUlNS_14LaunchContextTINS_3hip33LaunchContextIndicesAndDimsPolicyINS2_14IndicesAndDimsILb0ELb0ELb0ELb0EEEEEEEE0_NS_4expt15ForallParamPackIJEEEEEvT_T0_.private_seg_size, 0
	.set _ZN4RAJA28launch_new_reduce_global_fcnIZ4mainEUlNS_14LaunchContextTINS_3hip33LaunchContextIndicesAndDimsPolicyINS2_14IndicesAndDimsILb0ELb0ELb0ELb0EEEEEEEE0_NS_4expt15ForallParamPackIJEEEEEvT_T0_.uses_vcc, 1
	.set _ZN4RAJA28launch_new_reduce_global_fcnIZ4mainEUlNS_14LaunchContextTINS_3hip33LaunchContextIndicesAndDimsPolicyINS2_14IndicesAndDimsILb0ELb0ELb0ELb0EEEEEEEE0_NS_4expt15ForallParamPackIJEEEEEvT_T0_.uses_flat_scratch, 0
	.set _ZN4RAJA28launch_new_reduce_global_fcnIZ4mainEUlNS_14LaunchContextTINS_3hip33LaunchContextIndicesAndDimsPolicyINS2_14IndicesAndDimsILb0ELb0ELb0ELb0EEEEEEEE0_NS_4expt15ForallParamPackIJEEEEEvT_T0_.has_dyn_sized_stack, 0
	.set _ZN4RAJA28launch_new_reduce_global_fcnIZ4mainEUlNS_14LaunchContextTINS_3hip33LaunchContextIndicesAndDimsPolicyINS2_14IndicesAndDimsILb0ELb0ELb0ELb0EEEEEEEE0_NS_4expt15ForallParamPackIJEEEEEvT_T0_.has_recursion, 0
	.set _ZN4RAJA28launch_new_reduce_global_fcnIZ4mainEUlNS_14LaunchContextTINS_3hip33LaunchContextIndicesAndDimsPolicyINS2_14IndicesAndDimsILb0ELb0ELb0ELb0EEEEEEEE0_NS_4expt15ForallParamPackIJEEEEEvT_T0_.has_indirect_call, 0
	.section	.AMDGPU.csdata,"",@progbits
; Kernel info:
; codeLenInByte = 236
; TotalNumSgprs: 16
; NumVgprs: 8
; ScratchSize: 0
; MemoryBound: 0
; FloatMode: 240
; IeeeMode: 1
; LDSByteSize: 0 bytes/workgroup (compile time only)
; SGPRBlocks: 1
; VGPRBlocks: 1
; NumSGPRsForWavesPerEU: 16
; NumVGPRsForWavesPerEU: 8
; Occupancy: 10
; WaveLimiterHint : 0
; COMPUTE_PGM_RSRC2:SCRATCH_EN: 0
; COMPUTE_PGM_RSRC2:USER_SGPR: 6
; COMPUTE_PGM_RSRC2:TRAP_HANDLER: 0
; COMPUTE_PGM_RSRC2:TGID_X_EN: 1
; COMPUTE_PGM_RSRC2:TGID_Y_EN: 1
; COMPUTE_PGM_RSRC2:TGID_Z_EN: 1
; COMPUTE_PGM_RSRC2:TIDIG_COMP_CNT: 1
	.section	.text._ZN4RAJA28launch_new_reduce_global_fcnIZ4mainEUlNS_14LaunchContextTINS_3hip33LaunchContextIndicesAndDimsPolicyINS2_14IndicesAndDimsILb0ELb0ELb0ELb0EEEEEEEE1_NS_4expt15ForallParamPackIJEEEEEvT_T0_,"axG",@progbits,_ZN4RAJA28launch_new_reduce_global_fcnIZ4mainEUlNS_14LaunchContextTINS_3hip33LaunchContextIndicesAndDimsPolicyINS2_14IndicesAndDimsILb0ELb0ELb0ELb0EEEEEEEE1_NS_4expt15ForallParamPackIJEEEEEvT_T0_,comdat
	.globl	_ZN4RAJA28launch_new_reduce_global_fcnIZ4mainEUlNS_14LaunchContextTINS_3hip33LaunchContextIndicesAndDimsPolicyINS2_14IndicesAndDimsILb0ELb0ELb0ELb0EEEEEEEE1_NS_4expt15ForallParamPackIJEEEEEvT_T0_ ; -- Begin function _ZN4RAJA28launch_new_reduce_global_fcnIZ4mainEUlNS_14LaunchContextTINS_3hip33LaunchContextIndicesAndDimsPolicyINS2_14IndicesAndDimsILb0ELb0ELb0ELb0EEEEEEEE1_NS_4expt15ForallParamPackIJEEEEEvT_T0_
	.p2align	8
	.type	_ZN4RAJA28launch_new_reduce_global_fcnIZ4mainEUlNS_14LaunchContextTINS_3hip33LaunchContextIndicesAndDimsPolicyINS2_14IndicesAndDimsILb0ELb0ELb0ELb0EEEEEEEE1_NS_4expt15ForallParamPackIJEEEEEvT_T0_,@function
_ZN4RAJA28launch_new_reduce_global_fcnIZ4mainEUlNS_14LaunchContextTINS_3hip33LaunchContextIndicesAndDimsPolicyINS2_14IndicesAndDimsILb0ELb0ELb0ELb0EEEEEEEE1_NS_4expt15ForallParamPackIJEEEEEvT_T0_: ; @_ZN4RAJA28launch_new_reduce_global_fcnIZ4mainEUlNS_14LaunchContextTINS_3hip33LaunchContextIndicesAndDimsPolicyINS2_14IndicesAndDimsILb0ELb0ELb0ELb0EEEEEEEE1_NS_4expt15ForallParamPackIJEEEEEvT_T0_
; %bb.0:
	s_cmpk_lt_i32 s8, 0x64
	s_cselect_b64 s[2:3], -1, 0
	s_lshl_b32 s0, s7, 3
	s_cmp_lt_i32 s7, 13
	s_cselect_b64 s[10:11], -1, 0
	s_and_b64 s[2:3], s[2:3], s[10:11]
	s_lshl_b32 s1, s6, 5
	s_cmp_lt_i32 s6, 4
	s_cselect_b64 s[6:7], -1, 0
	s_and_b64 s[2:3], s[2:3], s[6:7]
	s_min_i32 s6, s0, 0x5c
	s_add_i32 s6, s6, 8
	s_max_i32 s6, s0, s6
	s_sub_i32 s6, s6, s0
	v_cmp_gt_i32_e32 vcc, s6, v1
	s_min_i32 s6, s1, 0x44
	s_add_i32 s6, s6, 32
	s_max_i32 s6, s1, s6
	s_sub_i32 s6, s6, s1
	s_and_b64 s[2:3], s[2:3], vcc
	v_cmp_gt_i32_e32 vcc, s6, v0
	s_and_b64 s[2:3], s[2:3], vcc
	s_and_saveexec_b64 s[6:7], s[2:3]
	s_cbranch_execz .LBB1_2
; %bb.1:
	v_add_u32_e32 v4, s1, v0
	v_cvt_f64_i32_e32 v[2:3], v4
	s_mov_b32 s2, 0xeb1c432d
	s_mov_b32 s3, 0x3f1a36e2
	v_add_u32_e32 v5, s0, v1
	v_mul_f64 v[2:3], v[2:3], s[2:3]
	v_cvt_f64_i32_e32 v[0:1], v5
	s_load_dwordx4 s[0:3], s[4:5], 0x14
	s_waitcnt lgkmcnt(0)
	v_mul_lo_u32 v4, s0, v4
	v_mul_f64 v[0:1], v[2:3], v[0:1]
	v_cvt_f64_i32_e32 v[2:3], s8
	v_mul_lo_u32 v5, s1, v5
	s_load_dwordx2 s[0:1], s[4:5], 0x0
	s_mul_i32 s2, s2, s8
	v_mul_f64 v[0:1], v[0:1], v[2:3]
	v_add3_u32 v2, v5, v4, s2
	v_ashrrev_i32_e32 v3, 31, v2
	v_lshlrev_b64 v[2:3], 3, v[2:3]
	s_waitcnt lgkmcnt(0)
	v_mov_b32_e32 v4, s1
	v_add_co_u32_e32 v2, vcc, s0, v2
	v_addc_co_u32_e32 v3, vcc, v4, v3, vcc
	global_store_dwordx2 v[2:3], v[0:1], off
.LBB1_2:
	s_endpgm
	.section	.rodata,"a",@progbits
	.p2align	6, 0x0
	.amdhsa_kernel _ZN4RAJA28launch_new_reduce_global_fcnIZ4mainEUlNS_14LaunchContextTINS_3hip33LaunchContextIndicesAndDimsPolicyINS2_14IndicesAndDimsILb0ELb0ELb0ELb0EEEEEEEE1_NS_4expt15ForallParamPackIJEEEEEvT_T0_
		.amdhsa_group_segment_fixed_size 0
		.amdhsa_private_segment_fixed_size 0
		.amdhsa_kernarg_size 60
		.amdhsa_user_sgpr_count 6
		.amdhsa_user_sgpr_private_segment_buffer 1
		.amdhsa_user_sgpr_dispatch_ptr 0
		.amdhsa_user_sgpr_queue_ptr 0
		.amdhsa_user_sgpr_kernarg_segment_ptr 1
		.amdhsa_user_sgpr_dispatch_id 0
		.amdhsa_user_sgpr_flat_scratch_init 0
		.amdhsa_user_sgpr_private_segment_size 0
		.amdhsa_uses_dynamic_stack 0
		.amdhsa_system_sgpr_private_segment_wavefront_offset 0
		.amdhsa_system_sgpr_workgroup_id_x 1
		.amdhsa_system_sgpr_workgroup_id_y 1
		.amdhsa_system_sgpr_workgroup_id_z 1
		.amdhsa_system_sgpr_workgroup_info 0
		.amdhsa_system_vgpr_workitem_id 1
		.amdhsa_next_free_vgpr 6
		.amdhsa_next_free_sgpr 12
		.amdhsa_reserve_vcc 1
		.amdhsa_reserve_flat_scratch 0
		.amdhsa_float_round_mode_32 0
		.amdhsa_float_round_mode_16_64 0
		.amdhsa_float_denorm_mode_32 3
		.amdhsa_float_denorm_mode_16_64 3
		.amdhsa_dx10_clamp 1
		.amdhsa_ieee_mode 1
		.amdhsa_fp16_overflow 0
		.amdhsa_exception_fp_ieee_invalid_op 0
		.amdhsa_exception_fp_denorm_src 0
		.amdhsa_exception_fp_ieee_div_zero 0
		.amdhsa_exception_fp_ieee_overflow 0
		.amdhsa_exception_fp_ieee_underflow 0
		.amdhsa_exception_fp_ieee_inexact 0
		.amdhsa_exception_int_div_zero 0
	.end_amdhsa_kernel
	.section	.text._ZN4RAJA28launch_new_reduce_global_fcnIZ4mainEUlNS_14LaunchContextTINS_3hip33LaunchContextIndicesAndDimsPolicyINS2_14IndicesAndDimsILb0ELb0ELb0ELb0EEEEEEEE1_NS_4expt15ForallParamPackIJEEEEEvT_T0_,"axG",@progbits,_ZN4RAJA28launch_new_reduce_global_fcnIZ4mainEUlNS_14LaunchContextTINS_3hip33LaunchContextIndicesAndDimsPolicyINS2_14IndicesAndDimsILb0ELb0ELb0ELb0EEEEEEEE1_NS_4expt15ForallParamPackIJEEEEEvT_T0_,comdat
.Lfunc_end1:
	.size	_ZN4RAJA28launch_new_reduce_global_fcnIZ4mainEUlNS_14LaunchContextTINS_3hip33LaunchContextIndicesAndDimsPolicyINS2_14IndicesAndDimsILb0ELb0ELb0ELb0EEEEEEEE1_NS_4expt15ForallParamPackIJEEEEEvT_T0_, .Lfunc_end1-_ZN4RAJA28launch_new_reduce_global_fcnIZ4mainEUlNS_14LaunchContextTINS_3hip33LaunchContextIndicesAndDimsPolicyINS2_14IndicesAndDimsILb0ELb0ELb0ELb0EEEEEEEE1_NS_4expt15ForallParamPackIJEEEEEvT_T0_
                                        ; -- End function
	.set _ZN4RAJA28launch_new_reduce_global_fcnIZ4mainEUlNS_14LaunchContextTINS_3hip33LaunchContextIndicesAndDimsPolicyINS2_14IndicesAndDimsILb0ELb0ELb0ELb0EEEEEEEE1_NS_4expt15ForallParamPackIJEEEEEvT_T0_.num_vgpr, 6
	.set _ZN4RAJA28launch_new_reduce_global_fcnIZ4mainEUlNS_14LaunchContextTINS_3hip33LaunchContextIndicesAndDimsPolicyINS2_14IndicesAndDimsILb0ELb0ELb0ELb0EEEEEEEE1_NS_4expt15ForallParamPackIJEEEEEvT_T0_.num_agpr, 0
	.set _ZN4RAJA28launch_new_reduce_global_fcnIZ4mainEUlNS_14LaunchContextTINS_3hip33LaunchContextIndicesAndDimsPolicyINS2_14IndicesAndDimsILb0ELb0ELb0ELb0EEEEEEEE1_NS_4expt15ForallParamPackIJEEEEEvT_T0_.numbered_sgpr, 12
	.set _ZN4RAJA28launch_new_reduce_global_fcnIZ4mainEUlNS_14LaunchContextTINS_3hip33LaunchContextIndicesAndDimsPolicyINS2_14IndicesAndDimsILb0ELb0ELb0ELb0EEEEEEEE1_NS_4expt15ForallParamPackIJEEEEEvT_T0_.num_named_barrier, 0
	.set _ZN4RAJA28launch_new_reduce_global_fcnIZ4mainEUlNS_14LaunchContextTINS_3hip33LaunchContextIndicesAndDimsPolicyINS2_14IndicesAndDimsILb0ELb0ELb0ELb0EEEEEEEE1_NS_4expt15ForallParamPackIJEEEEEvT_T0_.private_seg_size, 0
	.set _ZN4RAJA28launch_new_reduce_global_fcnIZ4mainEUlNS_14LaunchContextTINS_3hip33LaunchContextIndicesAndDimsPolicyINS2_14IndicesAndDimsILb0ELb0ELb0ELb0EEEEEEEE1_NS_4expt15ForallParamPackIJEEEEEvT_T0_.uses_vcc, 1
	.set _ZN4RAJA28launch_new_reduce_global_fcnIZ4mainEUlNS_14LaunchContextTINS_3hip33LaunchContextIndicesAndDimsPolicyINS2_14IndicesAndDimsILb0ELb0ELb0ELb0EEEEEEEE1_NS_4expt15ForallParamPackIJEEEEEvT_T0_.uses_flat_scratch, 0
	.set _ZN4RAJA28launch_new_reduce_global_fcnIZ4mainEUlNS_14LaunchContextTINS_3hip33LaunchContextIndicesAndDimsPolicyINS2_14IndicesAndDimsILb0ELb0ELb0ELb0EEEEEEEE1_NS_4expt15ForallParamPackIJEEEEEvT_T0_.has_dyn_sized_stack, 0
	.set _ZN4RAJA28launch_new_reduce_global_fcnIZ4mainEUlNS_14LaunchContextTINS_3hip33LaunchContextIndicesAndDimsPolicyINS2_14IndicesAndDimsILb0ELb0ELb0ELb0EEEEEEEE1_NS_4expt15ForallParamPackIJEEEEEvT_T0_.has_recursion, 0
	.set _ZN4RAJA28launch_new_reduce_global_fcnIZ4mainEUlNS_14LaunchContextTINS_3hip33LaunchContextIndicesAndDimsPolicyINS2_14IndicesAndDimsILb0ELb0ELb0ELb0EEEEEEEE1_NS_4expt15ForallParamPackIJEEEEEvT_T0_.has_indirect_call, 0
	.section	.AMDGPU.csdata,"",@progbits
; Kernel info:
; codeLenInByte = 252
; TotalNumSgprs: 16
; NumVgprs: 6
; ScratchSize: 0
; MemoryBound: 0
; FloatMode: 240
; IeeeMode: 1
; LDSByteSize: 0 bytes/workgroup (compile time only)
; SGPRBlocks: 1
; VGPRBlocks: 1
; NumSGPRsForWavesPerEU: 16
; NumVGPRsForWavesPerEU: 6
; Occupancy: 10
; WaveLimiterHint : 0
; COMPUTE_PGM_RSRC2:SCRATCH_EN: 0
; COMPUTE_PGM_RSRC2:USER_SGPR: 6
; COMPUTE_PGM_RSRC2:TRAP_HANDLER: 0
; COMPUTE_PGM_RSRC2:TGID_X_EN: 1
; COMPUTE_PGM_RSRC2:TGID_Y_EN: 1
; COMPUTE_PGM_RSRC2:TGID_Z_EN: 1
; COMPUTE_PGM_RSRC2:TIDIG_COMP_CNT: 1
	.section	.AMDGPU.gpr_maximums,"",@progbits
	.set amdgpu.max_num_vgpr, 0
	.set amdgpu.max_num_agpr, 0
	.set amdgpu.max_num_sgpr, 0
	.section	.AMDGPU.csdata,"",@progbits
	.type	__hip_cuid_d36933b5f05e13b1,@object ; @__hip_cuid_d36933b5f05e13b1
	.section	.bss,"aw",@nobits
	.globl	__hip_cuid_d36933b5f05e13b1
__hip_cuid_d36933b5f05e13b1:
	.byte	0                               ; 0x0
	.size	__hip_cuid_d36933b5f05e13b1, 1

	.ident	"AMD clang version 22.0.0git (https://github.com/RadeonOpenCompute/llvm-project roc-7.2.4 26084 f58b06dce1f9c15707c5f808fd002e18c2accf7e)"
	.section	".note.GNU-stack","",@progbits
	.addrsig
	.addrsig_sym __hip_cuid_d36933b5f05e13b1
	.amdgpu_metadata
---
amdhsa.kernels:
  - .args:
      - .offset:         0
        .size:           56
        .value_kind:     by_value
      - .offset:         56
        .size:           1
        .value_kind:     by_value
      - .offset:         64
        .size:           4
        .value_kind:     hidden_block_count_x
      - .offset:         68
        .size:           4
        .value_kind:     hidden_block_count_y
      - .offset:         72
        .size:           4
        .value_kind:     hidden_block_count_z
      - .offset:         76
        .size:           2
        .value_kind:     hidden_group_size_x
      - .offset:         78
        .size:           2
        .value_kind:     hidden_group_size_y
      - .offset:         80
        .size:           2
        .value_kind:     hidden_group_size_z
      - .offset:         82
        .size:           2
        .value_kind:     hidden_remainder_x
      - .offset:         84
        .size:           2
        .value_kind:     hidden_remainder_y
      - .offset:         86
        .size:           2
        .value_kind:     hidden_remainder_z
      - .offset:         104
        .size:           8
        .value_kind:     hidden_global_offset_x
      - .offset:         112
        .size:           8
        .value_kind:     hidden_global_offset_y
      - .offset:         120
        .size:           8
        .value_kind:     hidden_global_offset_z
      - .offset:         128
        .size:           2
        .value_kind:     hidden_grid_dims
    .group_segment_fixed_size: 0
    .kernarg_segment_align: 8
    .kernarg_segment_size: 320
    .language:       OpenCL C
    .language_version:
      - 2
      - 0
    .max_flat_workgroup_size: 1024
    .name:           _ZN4RAJA28launch_new_reduce_global_fcnIZ4mainEUlNS_14LaunchContextTINS_3hip33LaunchContextIndicesAndDimsPolicyINS2_14IndicesAndDimsILb0ELb0ELb0ELb0EEEEEEEE0_NS_4expt15ForallParamPackIJEEEEEvT_T0_
    .private_segment_fixed_size: 0
    .sgpr_count:     16
    .sgpr_spill_count: 0
    .symbol:         _ZN4RAJA28launch_new_reduce_global_fcnIZ4mainEUlNS_14LaunchContextTINS_3hip33LaunchContextIndicesAndDimsPolicyINS2_14IndicesAndDimsILb0ELb0ELb0ELb0EEEEEEEE0_NS_4expt15ForallParamPackIJEEEEEvT_T0_.kd
    .uniform_work_group_size: 1
    .uses_dynamic_stack: false
    .vgpr_count:     8
    .vgpr_spill_count: 0
    .wavefront_size: 64
  - .args:
      - .offset:         0
        .size:           56
        .value_kind:     by_value
      - .offset:         56
        .size:           1
        .value_kind:     by_value
    .group_segment_fixed_size: 0
    .kernarg_segment_align: 8
    .kernarg_segment_size: 60
    .language:       OpenCL C
    .language_version:
      - 2
      - 0
    .max_flat_workgroup_size: 1024
    .name:           _ZN4RAJA28launch_new_reduce_global_fcnIZ4mainEUlNS_14LaunchContextTINS_3hip33LaunchContextIndicesAndDimsPolicyINS2_14IndicesAndDimsILb0ELb0ELb0ELb0EEEEEEEE1_NS_4expt15ForallParamPackIJEEEEEvT_T0_
    .private_segment_fixed_size: 0
    .sgpr_count:     16
    .sgpr_spill_count: 0
    .symbol:         _ZN4RAJA28launch_new_reduce_global_fcnIZ4mainEUlNS_14LaunchContextTINS_3hip33LaunchContextIndicesAndDimsPolicyINS2_14IndicesAndDimsILb0ELb0ELb0ELb0EEEEEEEE1_NS_4expt15ForallParamPackIJEEEEEvT_T0_.kd
    .uniform_work_group_size: 1
    .uses_dynamic_stack: false
    .vgpr_count:     6
    .vgpr_spill_count: 0
    .wavefront_size: 64
amdhsa.target:   amdgcn-amd-amdhsa--gfx906
amdhsa.version:
  - 1
  - 2
...

	.end_amdgpu_metadata
